;; amdgpu-corpus repo=ROCm/rocFFT kind=compiled arch=gfx906 opt=O3
	.text
	.amdgcn_target "amdgcn-amd-amdhsa--gfx906"
	.amdhsa_code_object_version 6
	.protected	fft_rtc_fwd_len26_factors_13_2_wgs_64_tpt_2_halfLds_sp_ip_CI_unitstride_sbrr_C2R_dirReg ; -- Begin function fft_rtc_fwd_len26_factors_13_2_wgs_64_tpt_2_halfLds_sp_ip_CI_unitstride_sbrr_C2R_dirReg
	.globl	fft_rtc_fwd_len26_factors_13_2_wgs_64_tpt_2_halfLds_sp_ip_CI_unitstride_sbrr_C2R_dirReg
	.p2align	8
	.type	fft_rtc_fwd_len26_factors_13_2_wgs_64_tpt_2_halfLds_sp_ip_CI_unitstride_sbrr_C2R_dirReg,@function
fft_rtc_fwd_len26_factors_13_2_wgs_64_tpt_2_halfLds_sp_ip_CI_unitstride_sbrr_C2R_dirReg: ; @fft_rtc_fwd_len26_factors_13_2_wgs_64_tpt_2_halfLds_sp_ip_CI_unitstride_sbrr_C2R_dirReg
; %bb.0:
	s_load_dwordx2 s[12:13], s[4:5], 0x50
	s_load_dwordx4 s[8:11], s[4:5], 0x0
	s_load_dwordx2 s[2:3], s[4:5], 0x18
	v_lshrrev_b32_e32 v9, 1, v0
	v_mov_b32_e32 v3, 0
	v_mov_b32_e32 v1, 0
	s_waitcnt lgkmcnt(0)
	v_cmp_lt_u64_e64 s[0:1], s[10:11], 2
	v_lshl_or_b32 v5, s6, 5, v9
	v_mov_b32_e32 v6, v3
	s_and_b64 vcc, exec, s[0:1]
	v_mov_b32_e32 v2, 0
	s_cbranch_vccnz .LBB0_8
; %bb.1:
	s_load_dwordx2 s[0:1], s[4:5], 0x10
	s_add_u32 s6, s2, 8
	s_addc_u32 s7, s3, 0
	v_mov_b32_e32 v1, 0
	v_mov_b32_e32 v2, 0
	s_waitcnt lgkmcnt(0)
	s_add_u32 s14, s0, 8
	s_addc_u32 s15, s1, 0
	s_mov_b64 s[16:17], 1
.LBB0_2:                                ; =>This Inner Loop Header: Depth=1
	s_load_dwordx2 s[18:19], s[14:15], 0x0
                                        ; implicit-def: $vgpr7_vgpr8
	s_waitcnt lgkmcnt(0)
	v_or_b32_e32 v4, s19, v6
	v_cmp_ne_u64_e32 vcc, 0, v[3:4]
	s_and_saveexec_b64 s[0:1], vcc
	s_xor_b64 s[20:21], exec, s[0:1]
	s_cbranch_execz .LBB0_4
; %bb.3:                                ;   in Loop: Header=BB0_2 Depth=1
	v_cvt_f32_u32_e32 v4, s18
	v_cvt_f32_u32_e32 v7, s19
	s_sub_u32 s0, 0, s18
	s_subb_u32 s1, 0, s19
	v_mac_f32_e32 v4, 0x4f800000, v7
	v_rcp_f32_e32 v4, v4
	v_mul_f32_e32 v4, 0x5f7ffffc, v4
	v_mul_f32_e32 v7, 0x2f800000, v4
	v_trunc_f32_e32 v7, v7
	v_mac_f32_e32 v4, 0xcf800000, v7
	v_cvt_u32_f32_e32 v7, v7
	v_cvt_u32_f32_e32 v4, v4
	v_mul_lo_u32 v8, s0, v7
	v_mul_hi_u32 v10, s0, v4
	v_mul_lo_u32 v12, s1, v4
	v_mul_lo_u32 v11, s0, v4
	v_add_u32_e32 v8, v10, v8
	v_add_u32_e32 v8, v8, v12
	v_mul_hi_u32 v10, v4, v11
	v_mul_lo_u32 v12, v4, v8
	v_mul_hi_u32 v14, v4, v8
	v_mul_hi_u32 v13, v7, v11
	v_mul_lo_u32 v11, v7, v11
	v_mul_hi_u32 v15, v7, v8
	v_add_co_u32_e32 v10, vcc, v10, v12
	v_addc_co_u32_e32 v12, vcc, 0, v14, vcc
	v_mul_lo_u32 v8, v7, v8
	v_add_co_u32_e32 v10, vcc, v10, v11
	v_addc_co_u32_e32 v10, vcc, v12, v13, vcc
	v_addc_co_u32_e32 v11, vcc, 0, v15, vcc
	v_add_co_u32_e32 v8, vcc, v10, v8
	v_addc_co_u32_e32 v10, vcc, 0, v11, vcc
	v_add_co_u32_e32 v4, vcc, v4, v8
	v_addc_co_u32_e32 v7, vcc, v7, v10, vcc
	v_mul_lo_u32 v8, s0, v7
	v_mul_hi_u32 v10, s0, v4
	v_mul_lo_u32 v11, s1, v4
	v_mul_lo_u32 v12, s0, v4
	v_add_u32_e32 v8, v10, v8
	v_add_u32_e32 v8, v8, v11
	v_mul_lo_u32 v13, v4, v8
	v_mul_hi_u32 v14, v4, v12
	v_mul_hi_u32 v15, v4, v8
	;; [unrolled: 1-line block ×3, first 2 shown]
	v_mul_lo_u32 v12, v7, v12
	v_mul_hi_u32 v10, v7, v8
	v_add_co_u32_e32 v13, vcc, v14, v13
	v_addc_co_u32_e32 v14, vcc, 0, v15, vcc
	v_mul_lo_u32 v8, v7, v8
	v_add_co_u32_e32 v12, vcc, v13, v12
	v_addc_co_u32_e32 v11, vcc, v14, v11, vcc
	v_addc_co_u32_e32 v10, vcc, 0, v10, vcc
	v_add_co_u32_e32 v8, vcc, v11, v8
	v_addc_co_u32_e32 v10, vcc, 0, v10, vcc
	v_add_co_u32_e32 v4, vcc, v4, v8
	v_addc_co_u32_e32 v10, vcc, v7, v10, vcc
	v_mad_u64_u32 v[7:8], s[0:1], v5, v10, 0
	v_mul_hi_u32 v11, v5, v4
	v_add_co_u32_e32 v12, vcc, v11, v7
	v_addc_co_u32_e32 v13, vcc, 0, v8, vcc
	v_mad_u64_u32 v[7:8], s[0:1], v6, v4, 0
	v_mad_u64_u32 v[10:11], s[0:1], v6, v10, 0
	v_add_co_u32_e32 v4, vcc, v12, v7
	v_addc_co_u32_e32 v4, vcc, v13, v8, vcc
	v_addc_co_u32_e32 v7, vcc, 0, v11, vcc
	v_add_co_u32_e32 v4, vcc, v4, v10
	v_addc_co_u32_e32 v10, vcc, 0, v7, vcc
	v_mul_lo_u32 v11, s19, v4
	v_mul_lo_u32 v12, s18, v10
	v_mad_u64_u32 v[7:8], s[0:1], s18, v4, 0
	v_add3_u32 v8, v8, v12, v11
	v_sub_u32_e32 v11, v6, v8
	v_mov_b32_e32 v12, s19
	v_sub_co_u32_e32 v7, vcc, v5, v7
	v_subb_co_u32_e64 v11, s[0:1], v11, v12, vcc
	v_subrev_co_u32_e64 v12, s[0:1], s18, v7
	v_subbrev_co_u32_e64 v11, s[0:1], 0, v11, s[0:1]
	v_cmp_le_u32_e64 s[0:1], s19, v11
	v_cndmask_b32_e64 v13, 0, -1, s[0:1]
	v_cmp_le_u32_e64 s[0:1], s18, v12
	v_cndmask_b32_e64 v12, 0, -1, s[0:1]
	v_cmp_eq_u32_e64 s[0:1], s19, v11
	v_cndmask_b32_e64 v11, v13, v12, s[0:1]
	v_add_co_u32_e64 v12, s[0:1], 2, v4
	v_addc_co_u32_e64 v13, s[0:1], 0, v10, s[0:1]
	v_add_co_u32_e64 v14, s[0:1], 1, v4
	v_addc_co_u32_e64 v15, s[0:1], 0, v10, s[0:1]
	v_subb_co_u32_e32 v8, vcc, v6, v8, vcc
	v_cmp_ne_u32_e64 s[0:1], 0, v11
	v_cmp_le_u32_e32 vcc, s19, v8
	v_cndmask_b32_e64 v11, v15, v13, s[0:1]
	v_cndmask_b32_e64 v13, 0, -1, vcc
	v_cmp_le_u32_e32 vcc, s18, v7
	v_cndmask_b32_e64 v7, 0, -1, vcc
	v_cmp_eq_u32_e32 vcc, s19, v8
	v_cndmask_b32_e32 v7, v13, v7, vcc
	v_cmp_ne_u32_e32 vcc, 0, v7
	v_cndmask_b32_e64 v7, v14, v12, s[0:1]
	v_cndmask_b32_e32 v8, v10, v11, vcc
	v_cndmask_b32_e32 v7, v4, v7, vcc
.LBB0_4:                                ;   in Loop: Header=BB0_2 Depth=1
	s_andn2_saveexec_b64 s[0:1], s[20:21]
	s_cbranch_execz .LBB0_6
; %bb.5:                                ;   in Loop: Header=BB0_2 Depth=1
	v_cvt_f32_u32_e32 v4, s18
	s_sub_i32 s20, 0, s18
	v_rcp_iflag_f32_e32 v4, v4
	v_mul_f32_e32 v4, 0x4f7ffffe, v4
	v_cvt_u32_f32_e32 v4, v4
	v_mul_lo_u32 v7, s20, v4
	v_mul_hi_u32 v7, v4, v7
	v_add_u32_e32 v4, v4, v7
	v_mul_hi_u32 v4, v5, v4
	v_mul_lo_u32 v7, v4, s18
	v_add_u32_e32 v8, 1, v4
	v_sub_u32_e32 v7, v5, v7
	v_subrev_u32_e32 v10, s18, v7
	v_cmp_le_u32_e32 vcc, s18, v7
	v_cndmask_b32_e32 v7, v7, v10, vcc
	v_cndmask_b32_e32 v4, v4, v8, vcc
	v_add_u32_e32 v8, 1, v4
	v_cmp_le_u32_e32 vcc, s18, v7
	v_cndmask_b32_e32 v7, v4, v8, vcc
	v_mov_b32_e32 v8, v3
.LBB0_6:                                ;   in Loop: Header=BB0_2 Depth=1
	s_or_b64 exec, exec, s[0:1]
	v_mul_lo_u32 v4, v8, s18
	v_mul_lo_u32 v12, v7, s19
	v_mad_u64_u32 v[10:11], s[0:1], v7, s18, 0
	s_load_dwordx2 s[0:1], s[6:7], 0x0
	s_add_u32 s16, s16, 1
	v_add3_u32 v4, v11, v12, v4
	v_sub_co_u32_e32 v5, vcc, v5, v10
	v_subb_co_u32_e32 v4, vcc, v6, v4, vcc
	s_waitcnt lgkmcnt(0)
	v_mul_lo_u32 v4, s0, v4
	v_mul_lo_u32 v6, s1, v5
	v_mad_u64_u32 v[1:2], s[0:1], s0, v5, v[1:2]
	s_addc_u32 s17, s17, 0
	s_add_u32 s6, s6, 8
	v_add3_u32 v2, v6, v2, v4
	v_mov_b32_e32 v4, s10
	v_mov_b32_e32 v5, s11
	s_addc_u32 s7, s7, 0
	v_cmp_ge_u64_e32 vcc, s[16:17], v[4:5]
	s_add_u32 s14, s14, 8
	s_addc_u32 s15, s15, 0
	s_cbranch_vccnz .LBB0_9
; %bb.7:                                ;   in Loop: Header=BB0_2 Depth=1
	v_mov_b32_e32 v5, v7
	v_mov_b32_e32 v6, v8
	s_branch .LBB0_2
.LBB0_8:
	v_mov_b32_e32 v8, v6
	v_mov_b32_e32 v7, v5
.LBB0_9:
	s_lshl_b64 s[0:1], s[10:11], 3
	s_add_u32 s0, s2, s0
	s_addc_u32 s1, s3, s1
	s_load_dwordx2 s[2:3], s[0:1], 0x0
	s_load_dwordx2 s[6:7], s[4:5], 0x20
	v_mul_u32_u24_e32 v25, 27, v9
	v_mov_b32_e32 v24, 0
	v_lshlrev_b32_e32 v16, 3, v25
	s_waitcnt lgkmcnt(0)
	v_mul_lo_u32 v5, s2, v8
	v_mul_lo_u32 v6, s3, v7
	v_mad_u64_u32 v[3:4], s[0:1], s2, v7, v[1:2]
	v_and_b32_e32 v2, 1, v0
	v_cmp_gt_u64_e32 vcc, s[6:7], v[7:8]
	v_add3_u32 v4, v6, v4, v5
	v_lshlrev_b64 v[26:27], 3, v[3:4]
	v_mov_b32_e32 v17, v2
	s_and_saveexec_b64 s[2:3], vcc
	s_cbranch_execz .LBB0_13
; %bb.10:
	v_mov_b32_e32 v0, s13
	v_add_co_u32_e64 v1, s[0:1], s12, v26
	v_addc_co_u32_e64 v3, s[0:1], v0, v27, s[0:1]
	v_lshlrev_b32_e32 v5, 3, v2
	v_add_co_u32_e64 v0, s[0:1], v1, v5
	v_addc_co_u32_e64 v1, s[0:1], 0, v3, s[0:1]
	global_load_dwordx2 v[6:7], v[0:1], off
	global_load_dwordx2 v[8:9], v[0:1], off offset:16
	global_load_dwordx2 v[10:11], v[0:1], off offset:32
	;; [unrolled: 1-line block ×12, first 2 shown]
	v_mov_b32_e32 v3, 0
	v_mov_b32_e32 v4, 0
	v_add3_u32 v5, 0, v16, v5
	v_cmp_ne_u32_e64 s[0:1], 0, v2
	s_waitcnt vmcnt(11)
	ds_write2_b64 v5, v[6:7], v[8:9] offset1:2
	s_waitcnt vmcnt(9)
	ds_write2_b64 v5, v[10:11], v[12:13] offset0:4 offset1:6
	s_waitcnt vmcnt(7)
	ds_write2_b64 v5, v[14:15], v[17:18] offset0:8 offset1:10
	s_waitcnt vmcnt(5)
	ds_write2_b64 v5, v[19:20], v[21:22] offset0:12 offset1:14
	s_waitcnt vmcnt(3)
	ds_write2_b64 v5, v[28:29], v[30:31] offset0:16 offset1:18
	s_waitcnt vmcnt(1)
	ds_write2_b64 v5, v[32:33], v[34:35] offset0:20 offset1:22
	s_waitcnt vmcnt(0)
	ds_write_b64 v5, v[36:37] offset:192
	s_and_saveexec_b64 s[4:5], s[0:1]
	s_cbranch_execz .LBB0_12
; %bb.11:
	global_load_dwordx2 v[0:1], v[0:1], off offset:200
	v_mov_b32_e32 v4, v3
	v_mov_b32_e32 v24, 1
	;; [unrolled: 1-line block ×3, first 2 shown]
	s_waitcnt vmcnt(0)
	ds_write_b64 v5, v[0:1] offset:200
.LBB0_12:
	s_or_b64 exec, exec, s[4:5]
	v_mov_b32_e32 v2, v3
	v_mov_b32_e32 v17, v24
	;; [unrolled: 1-line block ×3, first 2 shown]
.LBB0_13:
	s_or_b64 exec, exec, s[2:3]
	v_lshl_add_u32 v34, v25, 3, 0
	v_lshlrev_b32_e32 v35, 3, v17
	v_add_u32_e32 v28, v34, v35
	s_waitcnt lgkmcnt(0)
	; wave barrier
	s_waitcnt lgkmcnt(0)
	v_sub_u32_e32 v3, v34, v35
	ds_read_b32 v4, v28
	ds_read_b32 v5, v3 offset:208
	v_cmp_eq_u32_e64 s[0:1], 0, v17
	v_cmp_ne_u32_e64 s[2:3], 0, v17
	v_lshlrev_b32_e32 v36, 3, v2
	s_waitcnt lgkmcnt(0)
	v_add_f32_e32 v0, v5, v4
	v_sub_f32_e32 v1, v4, v5
	s_and_saveexec_b64 s[4:5], s[2:3]
	s_xor_b64 s[2:3], exec, s[4:5]
	s_cbranch_execz .LBB0_15
; %bb.14:
	global_load_dwordx2 v[6:7], v36, s[8:9] offset:104
	ds_read_b32 v0, v3 offset:212
	ds_read_b32 v1, v28 offset:4
	v_add_f32_e32 v2, v5, v4
	v_sub_f32_e32 v8, v4, v5
	s_waitcnt lgkmcnt(0)
	v_add_f32_e32 v9, v0, v1
	v_sub_f32_e32 v0, v1, v0
	s_waitcnt vmcnt(0)
	v_fma_f32 v4, -v8, v7, v2
	v_fma_f32 v5, v9, v7, -v0
	v_fma_f32 v10, v8, v7, v2
	v_fma_f32 v1, v9, v7, v0
	v_fmac_f32_e32 v4, v6, v9
	v_fmac_f32_e32 v5, v8, v6
	v_fma_f32 v0, -v6, v9, v10
	v_fmac_f32_e32 v1, v8, v6
	ds_write_b64 v3, v[4:5] offset:208
.LBB0_15:
	s_andn2_saveexec_b64 s[2:3], s[2:3]
	s_cbranch_execz .LBB0_17
; %bb.16:
	ds_read_b64 v[4:5], v34 offset:104
	s_waitcnt lgkmcnt(0)
	v_add_f32_e32 v4, v4, v4
	v_mul_f32_e32 v5, -2.0, v5
	ds_write_b64 v34, v[4:5] offset:104
.LBB0_17:
	s_or_b64 exec, exec, s[2:3]
	s_add_u32 s2, s8, 0x68
	s_addc_u32 s3, s9, 0
	global_load_dwordx2 v[4:5], v35, s[2:3] offset:16
	global_load_dwordx2 v[6:7], v35, s[2:3] offset:32
	global_load_dwordx2 v[8:9], v35, s[2:3] offset:48
	global_load_dwordx2 v[10:11], v35, s[2:3] offset:64
	ds_write_b64 v28, v[0:1]
	ds_read_b64 v[0:1], v28 offset:16
	ds_read_b64 v[12:13], v3 offset:192
	global_load_dwordx2 v[14:15], v35, s[2:3] offset:80
	s_waitcnt lgkmcnt(0)
	v_add_f32_e32 v2, v0, v12
	v_add_f32_e32 v18, v13, v1
	v_sub_f32_e32 v19, v0, v12
	v_sub_f32_e32 v12, v1, v13
	s_waitcnt vmcnt(4)
	v_fma_f32 v20, v19, v5, v2
	v_fma_f32 v13, v18, v5, v12
	v_fma_f32 v0, -v19, v5, v2
	v_fma_f32 v1, v18, v5, -v12
	v_fma_f32 v12, -v4, v18, v20
	v_fmac_f32_e32 v13, v19, v4
	v_fmac_f32_e32 v0, v4, v18
	v_fmac_f32_e32 v1, v19, v4
	ds_write_b64 v28, v[12:13] offset:16
	ds_write_b64 v3, v[0:1] offset:192
	ds_read_b64 v[0:1], v28 offset:32
	ds_read_b64 v[4:5], v3 offset:176
	s_waitcnt lgkmcnt(0)
	v_add_f32_e32 v2, v0, v4
	v_add_f32_e32 v12, v5, v1
	v_sub_f32_e32 v13, v0, v4
	v_sub_f32_e32 v0, v1, v5
	s_waitcnt vmcnt(3)
	v_fma_f32 v18, v13, v7, v2
	v_fma_f32 v1, v12, v7, v0
	v_fma_f32 v4, -v13, v7, v2
	v_fma_f32 v5, v12, v7, -v0
	v_fma_f32 v0, -v6, v12, v18
	v_fmac_f32_e32 v1, v13, v6
	v_fmac_f32_e32 v4, v6, v12
	v_fmac_f32_e32 v5, v13, v6
	ds_write_b64 v28, v[0:1] offset:32
	ds_write_b64 v3, v[4:5] offset:176
	ds_read_b64 v[0:1], v28 offset:48
	ds_read_b64 v[4:5], v3 offset:160
	s_waitcnt lgkmcnt(0)
	v_add_f32_e32 v2, v0, v4
	v_add_f32_e32 v6, v5, v1
	v_sub_f32_e32 v7, v0, v4
	v_sub_f32_e32 v0, v1, v5
	s_waitcnt vmcnt(2)
	v_fma_f32 v12, v7, v9, v2
	v_fma_f32 v1, v6, v9, v0
	v_fma_f32 v4, -v7, v9, v2
	v_fma_f32 v5, v6, v9, -v0
	v_fma_f32 v0, -v8, v6, v12
	v_fmac_f32_e32 v1, v7, v8
	v_fmac_f32_e32 v4, v8, v6
	v_fmac_f32_e32 v5, v7, v8
	ds_write_b64 v28, v[0:1] offset:48
	ds_write_b64 v3, v[4:5] offset:160
	ds_read_b64 v[0:1], v28 offset:64
	ds_read_b64 v[4:5], v3 offset:144
	s_waitcnt lgkmcnt(0)
	v_add_f32_e32 v2, v0, v4
	v_add_f32_e32 v6, v5, v1
	v_sub_f32_e32 v7, v0, v4
	v_sub_f32_e32 v0, v1, v5
	s_waitcnt vmcnt(1)
	v_fma_f32 v8, v7, v11, v2
	v_fma_f32 v1, v6, v11, v0
	v_fma_f32 v4, -v7, v11, v2
	v_fma_f32 v5, v6, v11, -v0
	v_fma_f32 v0, -v10, v6, v8
	v_fmac_f32_e32 v1, v7, v10
	v_fmac_f32_e32 v4, v10, v6
	v_fmac_f32_e32 v5, v7, v10
	ds_write_b64 v28, v[0:1] offset:64
	ds_write_b64 v3, v[4:5] offset:144
	ds_read_b64 v[0:1], v28 offset:80
	ds_read_b64 v[4:5], v3 offset:128
	s_waitcnt lgkmcnt(0)
	v_add_f32_e32 v2, v0, v4
	v_add_f32_e32 v6, v5, v1
	v_sub_f32_e32 v7, v0, v4
	v_sub_f32_e32 v0, v1, v5
	s_waitcnt vmcnt(0)
	v_fma_f32 v8, v7, v15, v2
	v_fma_f32 v1, v6, v15, v0
	v_fma_f32 v4, -v7, v15, v2
	v_fma_f32 v5, v6, v15, -v0
	v_fma_f32 v0, -v14, v6, v8
	v_fmac_f32_e32 v1, v7, v14
	v_fmac_f32_e32 v4, v14, v6
	;; [unrolled: 1-line block ×3, first 2 shown]
	ds_write_b64 v28, v[0:1] offset:80
	ds_write_b64 v3, v[4:5] offset:128
	s_and_saveexec_b64 s[2:3], s[0:1]
	s_cbranch_execz .LBB0_19
; %bb.18:
	ds_read2_b64 v[0:3], v34 offset0:12 offset1:14
	s_load_dwordx2 s[4:5], s[8:9], 0xc8
	s_waitcnt lgkmcnt(0)
	v_add_f32_e32 v4, v0, v2
	v_add_f32_e32 v5, v3, v1
	v_sub_f32_e32 v6, v0, v2
	v_sub_f32_e32 v3, v1, v3
	v_fma_f32 v0, s5, v6, v4
	v_fma_f32 v1, s5, v5, v3
	v_fma_f32 v2, -v6, s5, v4
	v_fma_f32 v3, v5, s5, -v3
	v_fma_f32 v0, -s4, v5, v0
	v_fmac_f32_e32 v1, s4, v6
	v_fmac_f32_e32 v2, s4, v5
	;; [unrolled: 1-line block ×3, first 2 shown]
	ds_write2_b64 v34, v[0:1], v[2:3] offset0:12 offset1:14
.LBB0_19:
	s_or_b64 exec, exec, s[2:3]
	s_waitcnt lgkmcnt(0)
	; wave barrier
	s_waitcnt lgkmcnt(0)
	s_waitcnt lgkmcnt(0)
	; wave barrier
	s_waitcnt lgkmcnt(0)
	ds_read_b64 v[14:15], v28
	v_lshl_add_u32 v38, v17, 3, 0
	v_add_u32_e32 v37, v38, v16
	ds_read2_b64 v[10:13], v37 offset0:2 offset1:4
	ds_read2_b64 v[18:21], v37 offset0:6 offset1:8
	;; [unrolled: 1-line block ×6, first 2 shown]
	s_mov_b32 s6, 0x3f62ad3f
	s_waitcnt lgkmcnt(5)
	v_add_f32_e32 v9, v15, v11
	v_add_f32_e32 v9, v9, v13
	s_waitcnt lgkmcnt(4)
	v_add_f32_e32 v9, v9, v19
	v_add_f32_e32 v8, v14, v10
	v_add_f32_e32 v9, v9, v21
	v_add_f32_e32 v8, v8, v12
	s_waitcnt lgkmcnt(3)
	v_add_f32_e32 v9, v9, v1
	v_add_f32_e32 v8, v8, v18
	v_add_f32_e32 v9, v9, v3
	v_add_f32_e32 v8, v8, v20
	s_waitcnt lgkmcnt(2)
	v_add_f32_e32 v9, v9, v5
	v_add_f32_e32 v8, v8, v0
	v_add_f32_e32 v9, v9, v7
	v_add_f32_e32 v8, v8, v2
	s_waitcnt lgkmcnt(1)
	v_add_f32_e32 v9, v9, v30
	v_add_f32_e32 v8, v8, v4
	v_add_f32_e32 v9, v9, v32
	v_add_f32_e32 v8, v8, v6
	s_waitcnt lgkmcnt(0)
	v_add_f32_e32 v9, v9, v40
	v_add_f32_e32 v22, v41, v10
	v_sub_f32_e32 v10, v10, v41
	v_add_f32_e32 v8, v8, v29
	v_add_f32_e32 v9, v9, v42
	;; [unrolled: 1-line block ×3, first 2 shown]
	v_sub_f32_e32 v11, v11, v42
	v_mul_f32_e32 v42, 0xbeedf032, v10
	v_mul_f32_e32 v46, 0xbf52af12, v10
	;; [unrolled: 1-line block ×6, first 2 shown]
	v_add_f32_e32 v8, v8, v31
	v_mov_b32_e32 v43, v42
	s_mov_b32 s4, 0x3f116cb1
	v_mov_b32_e32 v47, v46
	s_mov_b32 s2, 0x3df6dbef
	;; [unrolled: 2-line block ×5, first 2 shown]
	v_mov_b32_e32 v61, v10
	v_add_f32_e32 v8, v8, v39
	v_mul_f32_e32 v33, 0xbeedf032, v11
	v_fmac_f32_e32 v43, 0x3f62ad3f, v23
	v_fma_f32 v42, v23, s6, -v42
	v_mul_f32_e32 v44, 0xbf52af12, v11
	v_fmac_f32_e32 v47, 0x3f116cb1, v23
	v_fma_f32 v46, v23, s4, -v46
	;; [unrolled: 3-line block ×6, first 2 shown]
	v_add_f32_e32 v8, v8, v41
	v_fma_f32 v41, v22, s6, -v33
	v_add_f32_e32 v43, v15, v43
	v_fmac_f32_e32 v33, 0x3f62ad3f, v22
	v_add_f32_e32 v42, v15, v42
	v_fma_f32 v45, v22, s4, -v44
	v_add_f32_e32 v47, v15, v47
	v_fmac_f32_e32 v44, 0x3f116cb1, v22
	;; [unrolled: 4-line block ×6, first 2 shown]
	v_add_f32_e32 v10, v15, v10
	v_add_f32_e32 v15, v40, v13
	v_sub_f32_e32 v13, v13, v40
	v_add_f32_e32 v41, v14, v41
	v_add_f32_e32 v33, v14, v33
	;; [unrolled: 1-line block ×13, first 2 shown]
	v_sub_f32_e32 v12, v12, v39
	v_mul_f32_e32 v22, 0xbf52af12, v13
	v_fma_f32 v23, v14, s4, -v22
	v_mul_f32_e32 v39, 0xbf52af12, v12
	v_fmac_f32_e32 v22, 0x3f116cb1, v14
	v_mov_b32_e32 v40, v39
	v_add_f32_e32 v22, v22, v33
	v_fma_f32 v33, v15, s4, -v39
	v_mul_f32_e32 v39, 0xbf6f5d39, v13
	v_add_f32_e32 v23, v23, v41
	v_fmac_f32_e32 v40, 0x3f116cb1, v15
	v_add_f32_e32 v33, v33, v42
	v_fma_f32 v41, v14, s3, -v39
	v_mul_f32_e32 v42, 0xbf6f5d39, v12
	v_fmac_f32_e32 v39, 0xbeb58ec6, v14
	v_add_f32_e32 v40, v40, v43
	v_mov_b32_e32 v43, v42
	v_add_f32_e32 v39, v39, v44
	v_fma_f32 v42, v15, s3, -v42
	v_mul_f32_e32 v44, 0xbe750f2a, v13
	v_add_f32_e32 v41, v41, v45
	v_fmac_f32_e32 v43, 0xbeb58ec6, v15
	v_add_f32_e32 v42, v42, v46
	v_fma_f32 v45, v14, s7, -v44
	v_mul_f32_e32 v46, 0xbe750f2a, v12
	v_fmac_f32_e32 v44, 0xbf788fa5, v14
	v_add_f32_e32 v43, v43, v47
	;; [unrolled: 11-line block ×3, first 2 shown]
	v_mov_b32_e32 v51, v50
	v_add_f32_e32 v48, v48, v52
	v_fma_f32 v50, v15, s5, -v50
	v_mul_f32_e32 v52, 0x3f7e222b, v13
	v_add_f32_e32 v49, v49, v53
	v_fmac_f32_e32 v51, 0xbf3f9e67, v15
	v_add_f32_e32 v50, v50, v54
	v_fma_f32 v53, v14, s2, -v52
	v_mul_f32_e32 v54, 0x3f7e222b, v12
	v_mul_f32_e32 v12, 0x3eedf032, v12
	v_add_f32_e32 v51, v51, v55
	v_add_f32_e32 v53, v53, v57
	v_mov_b32_e32 v55, v54
	v_mov_b32_e32 v57, v12
	v_fmac_f32_e32 v55, 0x3df6dbef, v15
	v_fmac_f32_e32 v52, 0x3df6dbef, v14
	v_fma_f32 v54, v15, s2, -v54
	v_mul_f32_e32 v13, 0x3eedf032, v13
	v_fmac_f32_e32 v57, 0x3f62ad3f, v15
	v_fma_f32 v12, v15, s6, -v12
	v_sub_f32_e32 v15, v19, v32
	v_add_f32_e32 v52, v52, v56
	v_fma_f32 v56, v14, s6, -v13
	v_fmac_f32_e32 v13, 0x3f62ad3f, v14
	v_add_f32_e32 v10, v12, v10
	v_add_f32_e32 v12, v31, v18
	v_sub_f32_e32 v14, v18, v31
	v_mul_f32_e32 v18, 0xbf7e222b, v15
	v_add_f32_e32 v11, v13, v11
	v_add_f32_e32 v13, v32, v19
	v_fma_f32 v19, v12, s2, -v18
	v_add_f32_e32 v19, v19, v23
	v_mul_f32_e32 v23, 0xbf7e222b, v14
	v_fmac_f32_e32 v18, 0x3df6dbef, v12
	v_mov_b32_e32 v31, v23
	v_add_f32_e32 v18, v18, v22
	v_fma_f32 v22, v13, s2, -v23
	v_mul_f32_e32 v23, 0xbe750f2a, v15
	v_fmac_f32_e32 v31, 0x3df6dbef, v13
	v_add_f32_e32 v22, v22, v33
	v_fma_f32 v32, v12, s7, -v23
	v_mul_f32_e32 v33, 0xbe750f2a, v14
	v_fmac_f32_e32 v23, 0xbf788fa5, v12
	v_add_f32_e32 v31, v31, v40
	v_mov_b32_e32 v40, v33
	v_add_f32_e32 v23, v23, v39
	v_fma_f32 v33, v13, s7, -v33
	v_mul_f32_e32 v39, 0x3f6f5d39, v15
	v_add_f32_e32 v32, v32, v41
	v_fmac_f32_e32 v40, 0xbf788fa5, v13
	v_add_f32_e32 v33, v33, v42
	v_fma_f32 v41, v12, s3, -v39
	v_mul_f32_e32 v42, 0x3f6f5d39, v14
	v_fmac_f32_e32 v39, 0xbeb58ec6, v12
	v_add_f32_e32 v40, v40, v43
	v_mov_b32_e32 v43, v42
	v_add_f32_e32 v39, v39, v44
	v_fma_f32 v42, v13, s3, -v42
	v_mul_f32_e32 v44, 0x3eedf032, v15
	v_add_f32_e32 v41, v41, v45
	;; [unrolled: 11-line block ×3, first 2 shown]
	v_fmac_f32_e32 v47, 0x3f62ad3f, v13
	v_add_f32_e32 v46, v46, v50
	v_fma_f32 v49, v12, s4, -v48
	v_mul_f32_e32 v50, 0xbf52af12, v14
	v_fmac_f32_e32 v48, 0x3f116cb1, v12
	v_mul_f32_e32 v15, 0xbf29c268, v15
	v_add_f32_e32 v55, v55, v59
	v_add_f32_e32 v54, v54, v58
	;; [unrolled: 1-line block ×4, first 2 shown]
	v_mov_b32_e32 v51, v50
	v_add_f32_e32 v48, v48, v52
	v_fma_f32 v50, v13, s4, -v50
	v_fma_f32 v52, v12, s5, -v15
	v_mul_f32_e32 v14, 0xbf29c268, v14
	v_fmac_f32_e32 v15, 0xbf3f9e67, v12
	v_sub_f32_e32 v59, v21, v30
	v_fmac_f32_e32 v51, 0x3f116cb1, v13
	v_add_f32_e32 v50, v50, v54
	v_add_f32_e32 v52, v52, v56
	;; [unrolled: 1-line block ×3, first 2 shown]
	v_fma_f32 v11, v13, s5, -v14
	v_add_f32_e32 v56, v29, v20
	v_mul_f32_e32 v12, 0xbf6f5d39, v59
	v_add_f32_e32 v51, v51, v55
	v_add_f32_e32 v55, v11, v10
	v_fma_f32 v10, v56, s3, -v12
	v_fmac_f32_e32 v12, 0xbeb58ec6, v56
	v_add_f32_e32 v12, v12, v18
	v_mul_f32_e32 v18, 0x3f29c268, v59
	v_add_f32_e32 v49, v49, v53
	v_mov_b32_e32 v53, v14
	v_sub_f32_e32 v58, v20, v29
	v_fma_f32 v14, v56, s5, -v18
	v_add_f32_e32 v57, v57, v61
	v_fmac_f32_e32 v53, 0xbf3f9e67, v13
	v_add_f32_e32 v14, v14, v32
	v_mul_f32_e32 v32, 0xbf7e222b, v58
	v_add_f32_e32 v53, v53, v57
	v_add_f32_e32 v57, v30, v21
	;; [unrolled: 1-line block ×3, first 2 shown]
	v_mul_f32_e32 v13, 0xbf6f5d39, v58
	v_mul_f32_e32 v19, 0x3f29c268, v58
	v_mov_b32_e32 v30, v32
	v_mov_b32_e32 v11, v13
	v_fma_f32 v13, v57, s3, -v13
	v_mov_b32_e32 v15, v19
	v_fmac_f32_e32 v30, 0x3df6dbef, v57
	v_add_f32_e32 v13, v13, v22
	v_fmac_f32_e32 v15, 0xbf3f9e67, v57
	v_mul_f32_e32 v22, 0x3eedf032, v59
	v_add_f32_e32 v30, v30, v47
	v_fma_f32 v32, v57, s2, -v32
	v_add_f32_e32 v47, v7, v1
	v_sub_f32_e32 v1, v1, v7
	v_add_f32_e32 v15, v15, v40
	v_fma_f32 v19, v57, s5, -v19
	v_fma_f32 v20, v56, s6, -v22
	v_add_f32_e32 v32, v32, v46
	v_mul_f32_e32 v40, 0x3e750f2a, v59
	v_add_f32_e32 v46, v6, v0
	v_sub_f32_e32 v0, v0, v6
	v_mul_f32_e32 v6, 0xbf29c268, v1
	v_fmac_f32_e32 v11, 0xbeb58ec6, v57
	v_add_f32_e32 v19, v19, v33
	v_add_f32_e32 v20, v20, v41
	v_fmac_f32_e32 v22, 0x3f62ad3f, v56
	v_fma_f32 v33, v56, s7, -v40
	v_mul_f32_e32 v41, 0x3e750f2a, v58
	v_fmac_f32_e32 v40, 0xbf788fa5, v56
	v_fma_f32 v7, v46, s5, -v6
	v_add_f32_e32 v11, v11, v31
	v_fmac_f32_e32 v18, 0xbf3f9e67, v56
	v_add_f32_e32 v22, v22, v39
	v_mul_f32_e32 v31, 0xbf7e222b, v59
	v_mov_b32_e32 v39, v41
	v_add_f32_e32 v40, v40, v48
	v_fma_f32 v41, v57, s7, -v41
	v_add_f32_e32 v48, v7, v10
	v_mul_f32_e32 v7, 0xbf29c268, v0
	v_fmac_f32_e32 v6, 0xbf3f9e67, v46
	v_add_f32_e32 v18, v18, v23
	v_mul_f32_e32 v23, 0x3eedf032, v58
	v_fma_f32 v29, v56, s2, -v31
	v_fmac_f32_e32 v31, 0x3df6dbef, v56
	v_fmac_f32_e32 v39, 0xbf788fa5, v57
	v_add_f32_e32 v41, v41, v50
	v_add_f32_e32 v50, v6, v12
	v_fma_f32 v6, v47, s5, -v7
	v_mov_b32_e32 v21, v23
	v_fma_f32 v23, v57, s6, -v23
	v_add_f32_e32 v31, v31, v44
	v_add_f32_e32 v39, v39, v51
	v_mul_f32_e32 v44, 0x3f52af12, v59
	v_add_f32_e32 v51, v6, v13
	v_mul_f32_e32 v6, 0x3f7e222b, v1
	v_add_f32_e32 v23, v23, v42
	v_fma_f32 v42, v56, s4, -v44
	v_mov_b32_e32 v10, v7
	v_fma_f32 v7, v46, s2, -v6
	v_fmac_f32_e32 v21, 0x3f62ad3f, v57
	v_add_f32_e32 v29, v29, v45
	v_add_f32_e32 v42, v42, v52
	v_mul_f32_e32 v45, 0x3f52af12, v58
	v_fmac_f32_e32 v44, 0x3f116cb1, v56
	v_add_f32_e32 v52, v7, v14
	v_mul_f32_e32 v7, 0x3f7e222b, v0
	v_fmac_f32_e32 v6, 0x3df6dbef, v46
	v_add_f32_e32 v21, v21, v43
	v_mov_b32_e32 v43, v45
	v_add_f32_e32 v44, v44, v54
	v_fma_f32 v45, v57, s4, -v45
	v_add_f32_e32 v54, v6, v18
	v_fma_f32 v6, v47, s2, -v7
	v_add_f32_e32 v45, v45, v55
	v_fmac_f32_e32 v10, 0xbf3f9e67, v47
	v_add_f32_e32 v55, v6, v19
	v_mul_f32_e32 v6, 0xbf52af12, v1
	v_add_f32_e32 v33, v33, v49
	v_add_f32_e32 v49, v10, v11
	v_mov_b32_e32 v10, v7
	v_fma_f32 v7, v46, s4, -v6
	v_fmac_f32_e32 v43, 0x3f116cb1, v57
	v_fmac_f32_e32 v10, 0x3df6dbef, v47
	v_add_f32_e32 v56, v7, v20
	v_mul_f32_e32 v7, 0xbf52af12, v0
	v_add_f32_e32 v43, v43, v53
	v_add_f32_e32 v53, v10, v15
	v_mov_b32_e32 v10, v7
	v_fmac_f32_e32 v10, 0x3f116cb1, v47
	v_add_f32_e32 v57, v10, v21
	v_mul_f32_e32 v10, 0x3e750f2a, v1
	v_mul_f32_e32 v14, 0x3eedf032, v1
	;; [unrolled: 1-line block ×5, first 2 shown]
	v_mov_b32_e32 v13, v15
	v_fma_f32 v15, v47, s6, -v15
	v_fma_f32 v18, v46, s3, -v1
	v_mul_f32_e32 v0, 0xbf6f5d39, v0
	v_fma_f32 v12, v46, s6, -v14
	v_add_f32_e32 v15, v15, v41
	v_add_f32_e32 v20, v18, v42
	v_mov_b32_e32 v18, v0
	v_fma_f32 v0, v47, s3, -v0
	v_sub_f32_e32 v41, v3, v5
	v_add_f32_e32 v12, v12, v33
	v_fmac_f32_e32 v14, 0x3f62ad3f, v46
	v_fmac_f32_e32 v18, 0xbeb58ec6, v47
	;; [unrolled: 1-line block ×3, first 2 shown]
	v_add_f32_e32 v19, v0, v45
	v_add_f32_e32 v33, v4, v2
	v_mul_f32_e32 v0, 0xbe750f2a, v41
	v_fmac_f32_e32 v6, 0x3f116cb1, v46
	v_add_f32_e32 v14, v14, v40
	v_add_f32_e32 v21, v18, v43
	;; [unrolled: 1-line block ×3, first 2 shown]
	v_sub_f32_e32 v40, v2, v4
	v_fma_f32 v1, v33, s7, -v0
	v_add_f32_e32 v58, v6, v22
	v_fmac_f32_e32 v13, 0x3f62ad3f, v47
	v_add_f32_e32 v22, v1, v48
	v_mul_f32_e32 v1, 0xbe750f2a, v40
	v_fma_f32 v6, v47, s4, -v7
	v_add_f32_e32 v13, v13, v39
	v_add_f32_e32 v39, v5, v3
	v_mov_b32_e32 v2, v1
	v_add_f32_e32 v59, v6, v23
	v_fma_f32 v6, v46, s7, -v10
	v_fmac_f32_e32 v2, 0xbf788fa5, v39
	v_mul_f32_e32 v42, 0x3f52af12, v41
	v_add_f32_e32 v6, v6, v29
	v_fmac_f32_e32 v10, 0xbf788fa5, v46
	v_add_f32_e32 v23, v2, v49
	v_mul_f32_e32 v2, 0x3eedf032, v41
	v_fma_f32 v43, v33, s4, -v42
	v_mov_b32_e32 v7, v11
	v_add_f32_e32 v10, v10, v31
	v_fma_f32 v11, v47, s7, -v11
	v_fma_f32 v3, v33, s6, -v2
	v_add_f32_e32 v6, v43, v6
	v_mul_f32_e32 v43, 0x3f52af12, v40
	v_fmac_f32_e32 v42, 0x3f116cb1, v33
	v_add_f32_e32 v11, v11, v32
	v_add_f32_e32 v29, v3, v52
	v_mul_f32_e32 v3, 0x3eedf032, v40
	v_add_f32_e32 v10, v42, v10
	v_fma_f32 v42, v39, s4, -v43
	v_mov_b32_e32 v4, v3
	v_add_f32_e32 v11, v42, v11
	v_mul_f32_e32 v42, 0xbf6f5d39, v41
	v_fmac_f32_e32 v7, 0xbf788fa5, v47
	v_fmac_f32_e32 v4, 0x3f62ad3f, v39
	v_mov_b32_e32 v44, v43
	v_fma_f32 v43, v33, s3, -v42
	v_add_f32_e32 v7, v7, v30
	v_add_f32_e32 v30, v4, v53
	v_mul_f32_e32 v4, 0xbf29c268, v41
	v_add_f32_e32 v12, v43, v12
	v_mul_f32_e32 v43, 0xbf6f5d39, v40
	v_fmac_f32_e32 v42, 0xbeb58ec6, v33
	v_fma_f32 v5, v33, s5, -v4
	v_add_f32_e32 v14, v42, v14
	v_fma_f32 v42, v39, s3, -v43
	v_mul_f32_e32 v41, 0x3f7e222b, v41
	v_add_f32_e32 v31, v5, v56
	v_mul_f32_e32 v5, 0xbf29c268, v40
	v_fmac_f32_e32 v44, 0x3f116cb1, v39
	v_add_f32_e32 v15, v42, v15
	v_fma_f32 v42, v33, s2, -v41
	v_mul_f32_e32 v40, 0x3f7e222b, v40
	v_mov_b32_e32 v32, v5
	v_add_f32_e32 v7, v44, v7
	v_mov_b32_e32 v44, v43
	v_add_f32_e32 v20, v42, v20
	v_mov_b32_e32 v42, v40
	v_fmac_f32_e32 v0, 0xbf788fa5, v33
	v_fmac_f32_e32 v2, 0x3f62ad3f, v33
	;; [unrolled: 1-line block ×4, first 2 shown]
	v_fma_f32 v5, v39, s5, -v5
	v_fmac_f32_e32 v44, 0xbeb58ec6, v39
	v_fmac_f32_e32 v42, 0x3df6dbef, v39
	;; [unrolled: 1-line block ×3, first 2 shown]
	v_fma_f32 v33, v39, s2, -v40
	v_mul_u32_u24_e32 v17, 0x68, v17
	v_fma_f32 v1, v39, s7, -v1
	v_fma_f32 v3, v39, s6, -v3
	v_add_f32_e32 v32, v32, v57
	v_add_f32_e32 v4, v4, v58
	;; [unrolled: 1-line block ×7, first 2 shown]
	v_add3_u32 v16, 0, v17, v16
	v_add_f32_e32 v0, v0, v50
	v_add_f32_e32 v1, v1, v51
	;; [unrolled: 1-line block ×4, first 2 shown]
	s_waitcnt lgkmcnt(0)
	; wave barrier
	ds_write2_b64 v16, v[8:9], v[22:23] offset1:1
	ds_write2_b64 v16, v[29:30], v[31:32] offset0:2 offset1:3
	ds_write2_b64 v16, v[6:7], v[12:13] offset0:4 offset1:5
	;; [unrolled: 1-line block ×5, first 2 shown]
	ds_write_b64 v16, v[0:1] offset:96
	s_waitcnt lgkmcnt(0)
	; wave barrier
	s_waitcnt lgkmcnt(0)
	ds_read2_b64 v[4:7], v37 offset0:10 offset1:13
	ds_read2_b64 v[12:15], v37 offset0:2 offset1:4
	;; [unrolled: 1-line block ×5, first 2 shown]
	ds_read_b64 v[30:31], v28
	ds_read_b64 v[32:33], v37 offset:184
	v_mov_b32_e32 v28, 0
	v_mov_b32_e32 v29, 0
	s_and_saveexec_b64 s[2:3], s[0:1]
	s_cbranch_execz .LBB0_21
; %bb.20:
	ds_read2_b64 v[0:3], v34 offset0:12 offset1:25
	v_mov_b32_e32 v28, 12
	v_mov_b32_e32 v29, 0
.LBB0_21:
	s_or_b64 exec, exec, s[2:3]
	global_load_dwordx2 v[39:40], v36, s[8:9]
	global_load_dwordx2 v[41:42], v35, s[8:9] offset:16
	global_load_dwordx2 v[43:44], v35, s[8:9] offset:32
	;; [unrolled: 1-line block ×5, first 2 shown]
	v_lshl_add_u32 v25, v25, 3, v38
	s_waitcnt lgkmcnt(0)
	; wave barrier
	s_waitcnt vmcnt(5) lgkmcnt(0)
	v_mul_f32_e32 v29, v40, v7
	v_mul_f32_e32 v35, v40, v6
	s_waitcnt vmcnt(4)
	v_mul_f32_e32 v36, v42, v21
	v_mul_f32_e32 v38, v42, v20
	s_waitcnt vmcnt(3)
	;; [unrolled: 3-line block ×5, first 2 shown]
	v_mul_f32_e32 v52, v50, v33
	v_mul_f32_e32 v50, v50, v32
	v_fma_f32 v6, v39, v6, -v29
	v_fmac_f32_e32 v35, v39, v7
	v_fma_f32 v20, v41, v20, -v36
	v_fmac_f32_e32 v38, v41, v21
	;; [unrolled: 2-line block ×6, first 2 shown]
	v_sub_f32_e32 v6, v30, v6
	v_sub_f32_e32 v7, v31, v35
	v_sub_f32_e32 v16, v12, v20
	v_sub_f32_e32 v17, v13, v38
	v_sub_f32_e32 v18, v14, v21
	v_sub_f32_e32 v19, v15, v42
	v_sub_f32_e32 v20, v8, v22
	v_sub_f32_e32 v21, v9, v46
	v_sub_f32_e32 v22, v10, v23
	v_sub_f32_e32 v23, v11, v48
	v_sub_f32_e32 v32, v4, v29
	v_sub_f32_e32 v33, v5, v50
	v_fma_f32 v29, v30, 2.0, -v6
	v_fma_f32 v30, v31, 2.0, -v7
	;; [unrolled: 1-line block ×12, first 2 shown]
	ds_write_b64 v37, v[6:7] offset:104
	ds_write2_b64 v25, v[16:17], v[18:19] offset0:15 offset1:17
	ds_write2_b64 v25, v[20:21], v[22:23] offset0:19 offset1:21
	ds_write2_b64 v37, v[29:30], v[12:13] offset1:2
	ds_write2_b64 v37, v[14:15], v[8:9] offset0:4 offset1:6
	ds_write2_b64 v37, v[10:11], v[4:5] offset0:8 offset1:10
	ds_write_b64 v25, v[32:33] offset:184
	s_and_saveexec_b64 s[2:3], s[0:1]
	s_cbranch_execz .LBB0_23
; %bb.22:
	v_lshlrev_b32_e32 v4, 3, v28
	global_load_dwordx2 v[4:5], v4, s[8:9]
	s_waitcnt vmcnt(0)
	v_mul_f32_e32 v6, v2, v5
	v_mul_f32_e32 v5, v3, v5
	v_fmac_f32_e32 v6, v3, v4
	v_fma_f32 v2, v2, v4, -v5
	v_sub_f32_e32 v3, v1, v6
	v_sub_f32_e32 v2, v0, v2
	v_fma_f32 v1, v1, 2.0, -v3
	v_fma_f32 v0, v0, 2.0, -v2
	ds_write2_b64 v34, v[0:1], v[2:3] offset0:12 offset1:25
.LBB0_23:
	s_or_b64 exec, exec, s[2:3]
	s_waitcnt lgkmcnt(0)
	; wave barrier
	s_waitcnt lgkmcnt(0)
	s_and_saveexec_b64 s[0:1], vcc
	s_cbranch_execz .LBB0_25
; %bb.24:
	v_lshl_add_u32 v10, v24, 3, v34
	v_mov_b32_e32 v0, s13
	v_add_co_u32_e32 v11, vcc, s12, v26
	v_mov_b32_e32 v25, 0
	v_addc_co_u32_e32 v12, vcc, v0, v27, vcc
	ds_read2_b64 v[0:3], v10 offset1:2
	v_lshlrev_b64 v[4:5], 3, v[24:25]
	v_add_co_u32_e32 v8, vcc, v11, v4
	v_addc_co_u32_e32 v9, vcc, v12, v5, vcc
	s_waitcnt lgkmcnt(0)
	global_store_dwordx2 v[8:9], v[0:1], off
	v_add_u32_e32 v0, 2, v24
	v_mov_b32_e32 v1, v25
	v_lshlrev_b64 v[0:1], 3, v[0:1]
	ds_read2_b64 v[4:7], v10 offset0:4 offset1:6
	v_add_co_u32_e32 v0, vcc, v11, v0
	v_addc_co_u32_e32 v1, vcc, v12, v1, vcc
	global_store_dwordx2 v[0:1], v[2:3], off
	v_add_u32_e32 v0, 4, v24
	v_mov_b32_e32 v1, v25
	v_lshlrev_b64 v[0:1], 3, v[0:1]
	v_add_co_u32_e32 v0, vcc, v11, v0
	v_addc_co_u32_e32 v1, vcc, v12, v1, vcc
	s_waitcnt lgkmcnt(0)
	global_store_dwordx2 v[0:1], v[4:5], off
	v_add_u32_e32 v0, 6, v24
	v_mov_b32_e32 v1, v25
	v_lshlrev_b64 v[0:1], 3, v[0:1]
	v_add_u32_e32 v4, 8, v24
	v_add_co_u32_e32 v0, vcc, v11, v0
	v_addc_co_u32_e32 v1, vcc, v12, v1, vcc
	global_store_dwordx2 v[0:1], v[6:7], off
	v_mov_b32_e32 v5, v25
	ds_read2_b64 v[0:3], v10 offset0:8 offset1:10
	v_lshlrev_b64 v[4:5], 3, v[4:5]
	v_add_co_u32_e32 v4, vcc, v11, v4
	v_addc_co_u32_e32 v5, vcc, v12, v5, vcc
	s_waitcnt lgkmcnt(0)
	global_store_dwordx2 v[4:5], v[0:1], off
	v_add_u32_e32 v0, 10, v24
	v_mov_b32_e32 v1, v25
	v_lshlrev_b64 v[0:1], 3, v[0:1]
	v_add_u32_e32 v4, 12, v24
	v_add_co_u32_e32 v0, vcc, v11, v0
	v_addc_co_u32_e32 v1, vcc, v12, v1, vcc
	global_store_dwordx2 v[0:1], v[2:3], off
	v_mov_b32_e32 v5, v25
	ds_read2_b64 v[0:3], v10 offset0:12 offset1:14
	;; [unrolled: 14-line block ×3, first 2 shown]
	v_lshlrev_b64 v[4:5], 3, v[4:5]
	v_add_co_u32_e32 v4, vcc, v11, v4
	v_addc_co_u32_e32 v5, vcc, v12, v5, vcc
	s_waitcnt lgkmcnt(0)
	global_store_dwordx2 v[4:5], v[0:1], off
	v_add_u32_e32 v0, 18, v24
	v_mov_b32_e32 v1, v25
	v_lshlrev_b64 v[0:1], 3, v[0:1]
	ds_read2_b64 v[4:7], v10 offset0:20 offset1:22
	ds_read_b64 v[8:9], v10 offset:192
	v_add_co_u32_e32 v0, vcc, v11, v0
	v_addc_co_u32_e32 v1, vcc, v12, v1, vcc
	global_store_dwordx2 v[0:1], v[2:3], off
	v_add_u32_e32 v0, 20, v24
	v_mov_b32_e32 v1, v25
	v_lshlrev_b64 v[0:1], 3, v[0:1]
	v_add_co_u32_e32 v0, vcc, v11, v0
	v_addc_co_u32_e32 v1, vcc, v12, v1, vcc
	s_waitcnt lgkmcnt(1)
	global_store_dwordx2 v[0:1], v[4:5], off
	v_add_u32_e32 v0, 22, v24
	v_mov_b32_e32 v1, v25
	v_lshlrev_b64 v[0:1], 3, v[0:1]
	v_add_u32_e32 v24, 24, v24
	v_add_co_u32_e32 v0, vcc, v11, v0
	v_addc_co_u32_e32 v1, vcc, v12, v1, vcc
	global_store_dwordx2 v[0:1], v[6:7], off
	v_lshlrev_b64 v[0:1], 3, v[24:25]
	v_add_co_u32_e32 v0, vcc, v11, v0
	v_addc_co_u32_e32 v1, vcc, v12, v1, vcc
	s_waitcnt lgkmcnt(0)
	global_store_dwordx2 v[0:1], v[8:9], off
.LBB0_25:
	s_endpgm
	.section	.rodata,"a",@progbits
	.p2align	6, 0x0
	.amdhsa_kernel fft_rtc_fwd_len26_factors_13_2_wgs_64_tpt_2_halfLds_sp_ip_CI_unitstride_sbrr_C2R_dirReg
		.amdhsa_group_segment_fixed_size 0
		.amdhsa_private_segment_fixed_size 0
		.amdhsa_kernarg_size 88
		.amdhsa_user_sgpr_count 6
		.amdhsa_user_sgpr_private_segment_buffer 1
		.amdhsa_user_sgpr_dispatch_ptr 0
		.amdhsa_user_sgpr_queue_ptr 0
		.amdhsa_user_sgpr_kernarg_segment_ptr 1
		.amdhsa_user_sgpr_dispatch_id 0
		.amdhsa_user_sgpr_flat_scratch_init 0
		.amdhsa_user_sgpr_private_segment_size 0
		.amdhsa_uses_dynamic_stack 0
		.amdhsa_system_sgpr_private_segment_wavefront_offset 0
		.amdhsa_system_sgpr_workgroup_id_x 1
		.amdhsa_system_sgpr_workgroup_id_y 0
		.amdhsa_system_sgpr_workgroup_id_z 0
		.amdhsa_system_sgpr_workgroup_info 0
		.amdhsa_system_vgpr_workitem_id 0
		.amdhsa_next_free_vgpr 62
		.amdhsa_next_free_sgpr 22
		.amdhsa_reserve_vcc 1
		.amdhsa_reserve_flat_scratch 0
		.amdhsa_float_round_mode_32 0
		.amdhsa_float_round_mode_16_64 0
		.amdhsa_float_denorm_mode_32 3
		.amdhsa_float_denorm_mode_16_64 3
		.amdhsa_dx10_clamp 1
		.amdhsa_ieee_mode 1
		.amdhsa_fp16_overflow 0
		.amdhsa_exception_fp_ieee_invalid_op 0
		.amdhsa_exception_fp_denorm_src 0
		.amdhsa_exception_fp_ieee_div_zero 0
		.amdhsa_exception_fp_ieee_overflow 0
		.amdhsa_exception_fp_ieee_underflow 0
		.amdhsa_exception_fp_ieee_inexact 0
		.amdhsa_exception_int_div_zero 0
	.end_amdhsa_kernel
	.text
.Lfunc_end0:
	.size	fft_rtc_fwd_len26_factors_13_2_wgs_64_tpt_2_halfLds_sp_ip_CI_unitstride_sbrr_C2R_dirReg, .Lfunc_end0-fft_rtc_fwd_len26_factors_13_2_wgs_64_tpt_2_halfLds_sp_ip_CI_unitstride_sbrr_C2R_dirReg
                                        ; -- End function
	.section	.AMDGPU.csdata,"",@progbits
; Kernel info:
; codeLenInByte = 6356
; NumSgprs: 26
; NumVgprs: 62
; ScratchSize: 0
; MemoryBound: 0
; FloatMode: 240
; IeeeMode: 1
; LDSByteSize: 0 bytes/workgroup (compile time only)
; SGPRBlocks: 3
; VGPRBlocks: 15
; NumSGPRsForWavesPerEU: 26
; NumVGPRsForWavesPerEU: 62
; Occupancy: 4
; WaveLimiterHint : 1
; COMPUTE_PGM_RSRC2:SCRATCH_EN: 0
; COMPUTE_PGM_RSRC2:USER_SGPR: 6
; COMPUTE_PGM_RSRC2:TRAP_HANDLER: 0
; COMPUTE_PGM_RSRC2:TGID_X_EN: 1
; COMPUTE_PGM_RSRC2:TGID_Y_EN: 0
; COMPUTE_PGM_RSRC2:TGID_Z_EN: 0
; COMPUTE_PGM_RSRC2:TIDIG_COMP_CNT: 0
	.type	__hip_cuid_c6162b8182cddf1d,@object ; @__hip_cuid_c6162b8182cddf1d
	.section	.bss,"aw",@nobits
	.globl	__hip_cuid_c6162b8182cddf1d
__hip_cuid_c6162b8182cddf1d:
	.byte	0                               ; 0x0
	.size	__hip_cuid_c6162b8182cddf1d, 1

	.ident	"AMD clang version 19.0.0git (https://github.com/RadeonOpenCompute/llvm-project roc-6.4.0 25133 c7fe45cf4b819c5991fe208aaa96edf142730f1d)"
	.section	".note.GNU-stack","",@progbits
	.addrsig
	.addrsig_sym __hip_cuid_c6162b8182cddf1d
	.amdgpu_metadata
---
amdhsa.kernels:
  - .args:
      - .actual_access:  read_only
        .address_space:  global
        .offset:         0
        .size:           8
        .value_kind:     global_buffer
      - .offset:         8
        .size:           8
        .value_kind:     by_value
      - .actual_access:  read_only
        .address_space:  global
        .offset:         16
        .size:           8
        .value_kind:     global_buffer
      - .actual_access:  read_only
        .address_space:  global
        .offset:         24
        .size:           8
        .value_kind:     global_buffer
      - .offset:         32
        .size:           8
        .value_kind:     by_value
      - .actual_access:  read_only
        .address_space:  global
        .offset:         40
        .size:           8
        .value_kind:     global_buffer
      - .actual_access:  read_only
        .address_space:  global
        .offset:         48
        .size:           8
        .value_kind:     global_buffer
      - .offset:         56
        .size:           4
        .value_kind:     by_value
      - .actual_access:  read_only
        .address_space:  global
        .offset:         64
        .size:           8
        .value_kind:     global_buffer
      - .actual_access:  read_only
        .address_space:  global
        .offset:         72
        .size:           8
        .value_kind:     global_buffer
      - .address_space:  global
        .offset:         80
        .size:           8
        .value_kind:     global_buffer
    .group_segment_fixed_size: 0
    .kernarg_segment_align: 8
    .kernarg_segment_size: 88
    .language:       OpenCL C
    .language_version:
      - 2
      - 0
    .max_flat_workgroup_size: 64
    .name:           fft_rtc_fwd_len26_factors_13_2_wgs_64_tpt_2_halfLds_sp_ip_CI_unitstride_sbrr_C2R_dirReg
    .private_segment_fixed_size: 0
    .sgpr_count:     26
    .sgpr_spill_count: 0
    .symbol:         fft_rtc_fwd_len26_factors_13_2_wgs_64_tpt_2_halfLds_sp_ip_CI_unitstride_sbrr_C2R_dirReg.kd
    .uniform_work_group_size: 1
    .uses_dynamic_stack: false
    .vgpr_count:     62
    .vgpr_spill_count: 0
    .wavefront_size: 64
amdhsa.target:   amdgcn-amd-amdhsa--gfx906
amdhsa.version:
  - 1
  - 2
...

	.end_amdgpu_metadata
